;; amdgpu-corpus repo=ROCm/AMDMIGraphX kind=compiled arch=gfx906 opt=O3
	.text
	.amdgcn_target "amdgcn-amd-amdhsa--gfx906"
	.amdhsa_code_object_version 6
	.protected	reduce_sum_block_f32    ; -- Begin function reduce_sum_block_f32
	.globl	reduce_sum_block_f32
	.p2align	8
	.type	reduce_sum_block_f32,@function
reduce_sum_block_f32:                   ; @reduce_sum_block_f32
; %bb.0:
	s_load_dword s0, s[4:5], 0x1c
	s_waitcnt lgkmcnt(0)
	s_and_b32 s0, s0, 0xffff
	s_mul_i32 s6, s6, s0
	v_add_u32_e32 v1, s6, v0
	s_movk_i32 s0, 0x2000
	v_cmp_gt_u32_e32 vcc, s0, v1
	s_and_saveexec_b64 s[0:1], vcc
	s_cbranch_execz .LBB0_11
; %bb.1:
	s_load_dwordx4 s[0:3], s[4:5], 0x0
	v_lshrrev_b32_e32 v3, 10, v1
	v_bfe_u32 v4, v1, 8, 2
	v_lshlrev_b32_e32 v1, 13, v3
	v_lshl_or_b32 v1, v4, 11, v1
	v_mov_b32_e32 v2, 0
	v_lshlrev_b64 v[1:2], 2, v[1:2]
	s_waitcnt lgkmcnt(0)
	v_mov_b32_e32 v5, s1
	v_add_co_u32_e32 v6, vcc, s0, v1
	v_addc_co_u32_e32 v7, vcc, v5, v2, vcc
	v_lshlrev_b32_e32 v5, 2, v0
	v_add_co_u32_e32 v1, vcc, v6, v5
	v_addc_co_u32_e32 v2, vcc, 0, v7, vcc
	v_or_b32_e32 v5, 0x1000, v5
	v_add_co_u32_e32 v5, vcc, v6, v5
	v_addc_co_u32_e32 v6, vcc, 0, v7, vcc
	global_load_dword v7, v[1:2], off
	global_load_dword v8, v[1:2], off offset:1024
	global_load_dword v9, v[1:2], off offset:2048
	;; [unrolled: 1-line block ×3, first 2 shown]
	global_load_dword v11, v[5:6], off
	s_movk_i32 s0, 0x300
	v_cmp_gt_u32_e32 vcc, s0, v0
	s_waitcnt vmcnt(4)
	v_add_f32_e32 v5, 0, v7
	s_waitcnt vmcnt(3)
	v_add_f32_e32 v5, v5, v8
	;; [unrolled: 2-line block ×5, first 2 shown]
	s_and_saveexec_b64 s[0:1], vcc
	s_cbranch_execz .LBB0_3
; %bb.2:
	v_add_co_u32_e32 v6, vcc, 0x1000, v1
	v_addc_co_u32_e32 v7, vcc, 0, v2, vcc
	global_load_dword v6, v[6:7], off offset:1024
	s_waitcnt vmcnt(0)
	v_add_f32_e32 v5, v5, v6
.LBB0_3:
	s_or_b64 exec, exec, s[0:1]
	s_movk_i32 s0, 0x200
	v_cmp_gt_u32_e32 vcc, s0, v0
	s_and_saveexec_b64 s[0:1], vcc
	s_cbranch_execz .LBB0_5
; %bb.4:
	v_add_co_u32_e32 v6, vcc, 0x1000, v1
	v_addc_co_u32_e32 v7, vcc, 0, v2, vcc
	global_load_dword v6, v[6:7], off offset:2048
	s_waitcnt vmcnt(0)
	v_add_f32_e32 v5, v5, v6
.LBB0_5:
	s_or_b64 exec, exec, s[0:1]
	s_movk_i32 s0, 0x100
	v_cmp_gt_u32_e32 vcc, s0, v0
	s_and_saveexec_b64 s[0:1], vcc
	s_cbranch_execz .LBB0_7
; %bb.6:
	v_add_co_u32_e32 v1, vcc, 0x1000, v1
	v_addc_co_u32_e32 v2, vcc, 0, v2, vcc
	global_load_dword v1, v[1:2], off offset:3072
	s_waitcnt vmcnt(0)
	v_add_f32_e32 v5, v5, v1
.LBB0_7:
	s_or_b64 exec, exec, s[0:1]
	v_and_b32_e32 v1, 63, v0
	v_cmp_eq_u32_e32 vcc, 63, v1
	;;#ASMSTART
	s_nop 4
v_add_f32 v5 v5 v5 row_shr:1
s_nop 1
v_add_f32 v5 v5 v5 row_shr:2
s_nop 1
v_add_f32 v5 v5 v5 row_shr:4 bank_mask:0xe
s_nop 1
v_add_f32 v5 v5 v5 row_shr:8 bank_mask:0xc
s_nop 1
v_add_f32 v5 v5 v5 row_bcast:15 row_mask:0xa
s_nop 1
v_add_f32 v5 v5 v5 row_bcast:31 row_mask:0xc
s_nop 1

	;;#ASMEND
	s_and_saveexec_b64 s[0:1], vcc
	s_cbranch_execz .LBB0_9
; %bb.8:
	v_lshrrev_b32_e32 v1, 4, v0
	v_and_b32_e32 v1, 60, v1
	ds_write_b32 v1, v5
.LBB0_9:
	s_or_b64 exec, exec, s[0:1]
	v_cmp_eq_u32_e32 vcc, 0, v0
	s_waitcnt lgkmcnt(0)
	s_barrier
	s_and_b64 exec, exec, vcc
	s_cbranch_execz .LBB0_11
; %bb.10:
	v_mov_b32_e32 v0, 0
	ds_read_b128 v[5:8], v0
	v_lshlrev_b32_e32 v0, 2, v4
	v_lshl_or_b32 v0, v3, 4, v0
	s_waitcnt lgkmcnt(0)
	v_add_f32_e32 v1, 0, v5
	v_add_f32_e32 v1, v1, v6
	;; [unrolled: 1-line block ×4, first 2 shown]
	global_store_dword v0, v1, s[2:3]
.LBB0_11:
	s_endpgm
	.section	.rodata,"a",@progbits
	.p2align	6, 0x0
	.amdhsa_kernel reduce_sum_block_f32
		.amdhsa_group_segment_fixed_size 16
		.amdhsa_private_segment_fixed_size 0
		.amdhsa_kernarg_size 272
		.amdhsa_user_sgpr_count 6
		.amdhsa_user_sgpr_private_segment_buffer 1
		.amdhsa_user_sgpr_dispatch_ptr 0
		.amdhsa_user_sgpr_queue_ptr 0
		.amdhsa_user_sgpr_kernarg_segment_ptr 1
		.amdhsa_user_sgpr_dispatch_id 0
		.amdhsa_user_sgpr_flat_scratch_init 0
		.amdhsa_user_sgpr_private_segment_size 0
		.amdhsa_uses_dynamic_stack 0
		.amdhsa_system_sgpr_private_segment_wavefront_offset 0
		.amdhsa_system_sgpr_workgroup_id_x 1
		.amdhsa_system_sgpr_workgroup_id_y 0
		.amdhsa_system_sgpr_workgroup_id_z 0
		.amdhsa_system_sgpr_workgroup_info 0
		.amdhsa_system_vgpr_workitem_id 0
		.amdhsa_next_free_vgpr 12
		.amdhsa_next_free_sgpr 7
		.amdhsa_reserve_vcc 1
		.amdhsa_reserve_flat_scratch 0
		.amdhsa_float_round_mode_32 0
		.amdhsa_float_round_mode_16_64 0
		.amdhsa_float_denorm_mode_32 3
		.amdhsa_float_denorm_mode_16_64 3
		.amdhsa_dx10_clamp 1
		.amdhsa_ieee_mode 1
		.amdhsa_fp16_overflow 0
		.amdhsa_exception_fp_ieee_invalid_op 0
		.amdhsa_exception_fp_denorm_src 0
		.amdhsa_exception_fp_ieee_div_zero 0
		.amdhsa_exception_fp_ieee_overflow 0
		.amdhsa_exception_fp_ieee_underflow 0
		.amdhsa_exception_fp_ieee_inexact 0
		.amdhsa_exception_int_div_zero 0
	.end_amdhsa_kernel
	.text
.Lfunc_end0:
	.size	reduce_sum_block_f32, .Lfunc_end0-reduce_sum_block_f32
                                        ; -- End function
	.section	.AMDGPU.csdata,"",@progbits
; Kernel info:
; codeLenInByte = 572
; NumSgprs: 11
; NumVgprs: 12
; ScratchSize: 0
; MemoryBound: 0
; FloatMode: 240
; IeeeMode: 1
; LDSByteSize: 16 bytes/workgroup (compile time only)
; SGPRBlocks: 1
; VGPRBlocks: 2
; NumSGPRsForWavesPerEU: 11
; NumVGPRsForWavesPerEU: 12
; Occupancy: 8
; WaveLimiterHint : 1
; COMPUTE_PGM_RSRC2:SCRATCH_EN: 0
; COMPUTE_PGM_RSRC2:USER_SGPR: 6
; COMPUTE_PGM_RSRC2:TRAP_HANDLER: 0
; COMPUTE_PGM_RSRC2:TGID_X_EN: 1
; COMPUTE_PGM_RSRC2:TGID_Y_EN: 0
; COMPUTE_PGM_RSRC2:TGID_Z_EN: 0
; COMPUTE_PGM_RSRC2:TIDIG_COMP_CNT: 0
	.text
	.protected	reduce_max_lane_f16     ; -- Begin function reduce_max_lane_f16
	.globl	reduce_max_lane_f16
	.p2align	8
	.type	reduce_max_lane_f16,@function
reduce_max_lane_f16:                    ; @reduce_max_lane_f16
; %bb.0:
	s_load_dword s0, s[4:5], 0x1c
	s_waitcnt lgkmcnt(0)
	s_and_b32 s0, s0, 0xffff
	s_mul_i32 s6, s6, s0
	v_add_u32_e32 v4, s6, v0
	s_movk_i32 s0, 0x200
	v_cmp_gt_u32_e32 vcc, s0, v4
	s_and_saveexec_b64 s[0:1], vcc
	s_cbranch_execz .LBB1_4
; %bb.1:
	s_load_dwordx4 s[36:39], s[4:5], 0x0
	v_lshlrev_b32_e32 v0, 7, v4
	s_mov_b64 s[34:35], 0
	v_mov_b32_e32 v10, 0xfbff
	s_movk_i32 s33, 0x7c00
	s_waitcnt lgkmcnt(0)
	v_mov_b32_e32 v1, s37
	v_add_co_u32_e32 v5, vcc, s36, v0
	v_addc_co_u32_e32 v6, vcc, 0, v1, vcc
	s_movk_i32 s36, 0x7c01
	v_mov_b32_e32 v7, 0x7fff
.LBB1_2:                                ; =>This Inner Loop Header: Depth=1
	v_mov_b32_e32 v1, s35
	v_add_co_u32_e32 v0, vcc, s34, v5
	v_addc_co_u32_e32 v1, vcc, v6, v1, vcc
	global_load_dwordx4 v[0:3], v[0:1], off
	v_and_b32_e32 v8, 0x7fff, v10
	v_cmp_lt_u16_e32 vcc, s33, v8
	s_waitcnt vmcnt(0)
	v_and_b32_e32 v13, 0x7fff, v0
	v_cmp_gt_f16_e64 s[0:1], v10, v0
	v_cmp_lt_u16_e64 s[2:3], s33, v13
	v_cndmask_b32_e64 v14, v0, v10, s[0:1]
	v_cmp_gt_u16_e64 s[0:1], s36, v13
	s_and_b64 s[2:3], vcc, s[2:3]
	v_cndmask_b32_e64 v14, v14, v7, s[2:3]
	s_or_b64 s[30:31], vcc, s[0:1]
	v_cndmask_b32_e64 v10, v10, v14, s[30:31]
	s_and_b64 vcc, vcc, s[0:1]
	v_lshrrev_b32_e32 v12, 16, v0
	v_cndmask_b32_e32 v0, v10, v0, vcc
	v_and_b32_e32 v13, 0x7fff, v12
	v_and_b32_e32 v10, 0x7fff, v0
	v_cmp_gt_f16_e32 vcc, v0, v12
	v_cmp_gt_u16_e64 s[2:3], s36, v13
	v_cmp_lt_u16_e64 s[16:17], s33, v13
	v_cndmask_b32_e32 v13, v12, v0, vcc
	v_cmp_lt_u16_e32 vcc, s33, v10
	s_and_b64 s[0:1], vcc, s[16:17]
	v_cndmask_b32_e64 v10, v13, v7, s[0:1]
	s_or_b64 s[0:1], vcc, s[2:3]
	v_cndmask_b32_e64 v0, v0, v10, s[0:1]
	s_and_b64 vcc, vcc, s[2:3]
	v_cndmask_b32_e32 v0, v0, v12, vcc
	v_and_b32_e32 v15, 0x7fff, v1
	v_and_b32_e32 v10, 0x7fff, v0
	v_cmp_gt_f16_e32 vcc, v0, v1
	v_cmp_lt_u16_e64 s[6:7], s33, v15
	v_cndmask_b32_e32 v12, v1, v0, vcc
	v_cmp_lt_u16_e32 vcc, s33, v10
	v_cmp_gt_u16_e64 s[4:5], s36, v15
	s_and_b64 s[0:1], vcc, s[6:7]
	v_cndmask_b32_e64 v10, v12, v7, s[0:1]
	s_or_b64 s[0:1], vcc, s[4:5]
	v_cndmask_b32_e64 v0, v0, v10, s[0:1]
	s_and_b64 vcc, vcc, s[4:5]
	v_lshrrev_b32_e32 v11, 16, v1
	v_cndmask_b32_e32 v0, v0, v1, vcc
	v_and_b32_e32 v15, 0x7fff, v11
	v_and_b32_e32 v1, 0x7fff, v0
	v_cmp_gt_f16_e32 vcc, v0, v11
	v_cmp_lt_u16_e64 s[20:21], s33, v15
	v_cndmask_b32_e32 v10, v11, v0, vcc
	v_cmp_lt_u16_e32 vcc, s33, v1
	v_cmp_gt_u16_e64 s[18:19], s36, v15
	s_and_b64 s[0:1], vcc, s[20:21]
	v_cndmask_b32_e64 v1, v10, v7, s[0:1]
	s_or_b64 s[0:1], vcc, s[18:19]
	v_cndmask_b32_e64 v0, v0, v1, s[0:1]
	s_and_b64 vcc, vcc, s[18:19]
	v_cndmask_b32_e32 v0, v0, v11, vcc
	v_and_b32_e32 v16, 0x7fff, v2
	v_and_b32_e32 v1, 0x7fff, v0
	v_cmp_gt_f16_e32 vcc, v0, v2
	v_cmp_lt_u16_e64 s[10:11], s33, v16
	v_cndmask_b32_e32 v10, v2, v0, vcc
	v_cmp_lt_u16_e32 vcc, s33, v1
	v_cmp_gt_u16_e64 s[8:9], s36, v16
	s_and_b64 s[0:1], vcc, s[10:11]
	v_cndmask_b32_e64 v1, v10, v7, s[0:1]
	s_or_b64 s[0:1], vcc, s[8:9]
	v_cndmask_b32_e64 v0, v0, v1, s[0:1]
	s_and_b64 vcc, vcc, s[8:9]
	v_lshrrev_b32_e32 v9, 16, v2
	v_cndmask_b32_e32 v0, v0, v2, vcc
	v_and_b32_e32 v16, 0x7fff, v9
	v_and_b32_e32 v1, 0x7fff, v0
	v_cmp_gt_f16_e32 vcc, v0, v9
	v_cmp_lt_u16_e64 s[24:25], s33, v16
	v_cndmask_b32_e32 v2, v9, v0, vcc
	v_cmp_lt_u16_e32 vcc, s33, v1
	v_cmp_gt_u16_e64 s[22:23], s36, v16
	;; [unrolled: 27-line block ×3, first 2 shown]
	s_and_b64 s[0:1], vcc, s[28:29]
	v_cndmask_b32_e64 v1, v2, v7, s[0:1]
	s_or_b64 s[0:1], vcc, s[26:27]
	s_and_b64 vcc, vcc, s[26:27]
	s_add_u32 s34, s34, 16
	v_cndmask_b32_e64 v0, v0, v1, s[0:1]
	s_addc_u32 s35, s35, 0
	s_cmpk_lg_i32 s34, 0x80
	v_cndmask_b32_e32 v10, v0, v8, vcc
	s_cbranch_scc1 .LBB1_2
; %bb.3:
	v_mov_b32_e32 v5, 0
	v_lshlrev_b64 v[0:1], 1, v[4:5]
	v_mov_b32_e32 v2, s39
	v_add_co_u32_e32 v0, vcc, s38, v0
	v_addc_co_u32_e32 v1, vcc, v2, v1, vcc
	global_store_short v[0:1], v10, off
.LBB1_4:
	s_endpgm
	.section	.rodata,"a",@progbits
	.p2align	6, 0x0
	.amdhsa_kernel reduce_max_lane_f16
		.amdhsa_group_segment_fixed_size 0
		.amdhsa_private_segment_fixed_size 0
		.amdhsa_kernarg_size 272
		.amdhsa_user_sgpr_count 6
		.amdhsa_user_sgpr_private_segment_buffer 1
		.amdhsa_user_sgpr_dispatch_ptr 0
		.amdhsa_user_sgpr_queue_ptr 0
		.amdhsa_user_sgpr_kernarg_segment_ptr 1
		.amdhsa_user_sgpr_dispatch_id 0
		.amdhsa_user_sgpr_flat_scratch_init 0
		.amdhsa_user_sgpr_private_segment_size 0
		.amdhsa_uses_dynamic_stack 0
		.amdhsa_system_sgpr_private_segment_wavefront_offset 0
		.amdhsa_system_sgpr_workgroup_id_x 1
		.amdhsa_system_sgpr_workgroup_id_y 0
		.amdhsa_system_sgpr_workgroup_id_z 0
		.amdhsa_system_sgpr_workgroup_info 0
		.amdhsa_system_vgpr_workitem_id 0
		.amdhsa_next_free_vgpr 18
		.amdhsa_next_free_sgpr 40
		.amdhsa_reserve_vcc 1
		.amdhsa_reserve_flat_scratch 0
		.amdhsa_float_round_mode_32 0
		.amdhsa_float_round_mode_16_64 0
		.amdhsa_float_denorm_mode_32 3
		.amdhsa_float_denorm_mode_16_64 3
		.amdhsa_dx10_clamp 1
		.amdhsa_ieee_mode 1
		.amdhsa_fp16_overflow 0
		.amdhsa_exception_fp_ieee_invalid_op 0
		.amdhsa_exception_fp_denorm_src 0
		.amdhsa_exception_fp_ieee_div_zero 0
		.amdhsa_exception_fp_ieee_overflow 0
		.amdhsa_exception_fp_ieee_underflow 0
		.amdhsa_exception_fp_ieee_inexact 0
		.amdhsa_exception_int_div_zero 0
	.end_amdhsa_kernel
	.text
.Lfunc_end1:
	.size	reduce_max_lane_f16, .Lfunc_end1-reduce_max_lane_f16
                                        ; -- End function
	.section	.AMDGPU.csdata,"",@progbits
; Kernel info:
; codeLenInByte = 808
; NumSgprs: 44
; NumVgprs: 18
; ScratchSize: 0
; MemoryBound: 0
; FloatMode: 240
; IeeeMode: 1
; LDSByteSize: 0 bytes/workgroup (compile time only)
; SGPRBlocks: 5
; VGPRBlocks: 4
; NumSGPRsForWavesPerEU: 44
; NumVGPRsForWavesPerEU: 18
; Occupancy: 8
; WaveLimiterHint : 0
; COMPUTE_PGM_RSRC2:SCRATCH_EN: 0
; COMPUTE_PGM_RSRC2:USER_SGPR: 6
; COMPUTE_PGM_RSRC2:TRAP_HANDLER: 0
; COMPUTE_PGM_RSRC2:TGID_X_EN: 1
; COMPUTE_PGM_RSRC2:TGID_Y_EN: 0
; COMPUTE_PGM_RSRC2:TGID_Z_EN: 0
; COMPUTE_PGM_RSRC2:TIDIG_COMP_CNT: 0
	.type	__hip_cuid_7afa4d17b36edd39,@object ; @__hip_cuid_7afa4d17b36edd39
	.section	.bss,"aw",@nobits
	.globl	__hip_cuid_7afa4d17b36edd39
__hip_cuid_7afa4d17b36edd39:
	.byte	0                               ; 0x0
	.size	__hip_cuid_7afa4d17b36edd39, 1

	.ident	"AMD clang version 19.0.0git (https://github.com/RadeonOpenCompute/llvm-project roc-6.4.0 25133 c7fe45cf4b819c5991fe208aaa96edf142730f1d)"
	.section	".note.GNU-stack","",@progbits
	.addrsig
	.addrsig_sym __hip_cuid_7afa4d17b36edd39
	.amdgpu_metadata
---
amdhsa.kernels:
  - .args:
      - .address_space:  global
        .offset:         0
        .size:           8
        .value_kind:     global_buffer
      - .address_space:  global
        .offset:         8
        .size:           8
        .value_kind:     global_buffer
      - .offset:         16
        .size:           4
        .value_kind:     hidden_block_count_x
      - .offset:         20
        .size:           4
        .value_kind:     hidden_block_count_y
      - .offset:         24
        .size:           4
        .value_kind:     hidden_block_count_z
      - .offset:         28
        .size:           2
        .value_kind:     hidden_group_size_x
      - .offset:         30
        .size:           2
        .value_kind:     hidden_group_size_y
      - .offset:         32
        .size:           2
        .value_kind:     hidden_group_size_z
      - .offset:         34
        .size:           2
        .value_kind:     hidden_remainder_x
      - .offset:         36
        .size:           2
        .value_kind:     hidden_remainder_y
      - .offset:         38
        .size:           2
        .value_kind:     hidden_remainder_z
      - .offset:         56
        .size:           8
        .value_kind:     hidden_global_offset_x
      - .offset:         64
        .size:           8
        .value_kind:     hidden_global_offset_y
      - .offset:         72
        .size:           8
        .value_kind:     hidden_global_offset_z
      - .offset:         80
        .size:           2
        .value_kind:     hidden_grid_dims
    .group_segment_fixed_size: 16
    .kernarg_segment_align: 8
    .kernarg_segment_size: 272
    .language:       OpenCL C
    .language_version:
      - 2
      - 0
    .max_flat_workgroup_size: 1024
    .name:           reduce_sum_block_f32
    .private_segment_fixed_size: 0
    .sgpr_count:     11
    .sgpr_spill_count: 0
    .symbol:         reduce_sum_block_f32.kd
    .uniform_work_group_size: 1
    .uses_dynamic_stack: false
    .vgpr_count:     12
    .vgpr_spill_count: 0
    .wavefront_size: 64
  - .args:
      - .address_space:  global
        .offset:         0
        .size:           8
        .value_kind:     global_buffer
      - .address_space:  global
        .offset:         8
        .size:           8
        .value_kind:     global_buffer
      - .offset:         16
        .size:           4
        .value_kind:     hidden_block_count_x
      - .offset:         20
        .size:           4
        .value_kind:     hidden_block_count_y
      - .offset:         24
        .size:           4
        .value_kind:     hidden_block_count_z
      - .offset:         28
        .size:           2
        .value_kind:     hidden_group_size_x
      - .offset:         30
        .size:           2
        .value_kind:     hidden_group_size_y
      - .offset:         32
        .size:           2
        .value_kind:     hidden_group_size_z
      - .offset:         34
        .size:           2
        .value_kind:     hidden_remainder_x
      - .offset:         36
        .size:           2
        .value_kind:     hidden_remainder_y
      - .offset:         38
        .size:           2
        .value_kind:     hidden_remainder_z
      - .offset:         56
        .size:           8
        .value_kind:     hidden_global_offset_x
      - .offset:         64
        .size:           8
        .value_kind:     hidden_global_offset_y
      - .offset:         72
        .size:           8
        .value_kind:     hidden_global_offset_z
      - .offset:         80
        .size:           2
        .value_kind:     hidden_grid_dims
    .group_segment_fixed_size: 0
    .kernarg_segment_align: 8
    .kernarg_segment_size: 272
    .language:       OpenCL C
    .language_version:
      - 2
      - 0
    .max_flat_workgroup_size: 1024
    .name:           reduce_max_lane_f16
    .private_segment_fixed_size: 0
    .sgpr_count:     44
    .sgpr_spill_count: 0
    .symbol:         reduce_max_lane_f16.kd
    .uniform_work_group_size: 1
    .uses_dynamic_stack: false
    .vgpr_count:     18
    .vgpr_spill_count: 0
    .wavefront_size: 64
amdhsa.target:   amdgcn-amd-amdhsa--gfx906
amdhsa.version:
  - 1
  - 2
...

	.end_amdgpu_metadata
